;; amdgpu-corpus repo=llvm/llvm-project kind=harvested arch=n/a opt=n/a
// NOTE: Assertions have been autogenerated by utils/update_mc_test_checks.py UTC_ARGS: --unique --version 5
// RUN: llvm-mc -triple=amdgcn -mcpu=gfx1170 -mattr=-real-true16 -show-encoding %s | FileCheck --check-prefixes=GFX1170 %s
// RUN: llvm-mc -triple=amdgcn -mcpu=gfx1170 -mattr=-real-true16 -show-encoding %s | %extract-encodings | llvm-mc -triple=amdgcn -mcpu=gfx1170 -mattr=-real-true16 -disassemble -show-encoding | FileCheck --strict-whitespace --check-prefixes=GFX1170 %s

v_max_num_f16_e64_dpp v5, v1, v2 quad_perm:[3,2,1,0]
// GFX1170: v_max_num_f16_e64_dpp v5, v1, v2 quad_perm:[3,2,1,0] row_mask:0xf bank_mask:0xf ; encoding: [0x05,0x00,0x39,0xd5,0xfa,0x04,0x02,0x00,0x01,0x1b,0x00,0xff]

v_max_num_f16_e64_dpp v5, v1, v2 quad_perm:[0,1,2,3]
// GFX1170: v_max_num_f16_e64_dpp v5, v1, v2 quad_perm:[0,1,2,3] row_mask:0xf bank_mask:0xf ; encoding: [0x05,0x00,0x39,0xd5,0xfa,0x04,0x02,0x00,0x01,0xe4,0x00,0xff]

v_max_num_f16_e64_dpp v5, v1, v2 row_mirror
// GFX1170: v_max_num_f16_e64_dpp v5, v1, v2 row_mirror row_mask:0xf bank_mask:0xf ; encoding: [0x05,0x00,0x39,0xd5,0xfa,0x04,0x02,0x00,0x01,0x40,0x01,0xff]

v_max_num_f16_e64_dpp v5, v1, v2 row_half_mirror
// GFX1170: v_max_num_f16_e64_dpp v5, v1, v2 row_half_mirror row_mask:0xf bank_mask:0xf ; encoding: [0x05,0x00,0x39,0xd5,0xfa,0x04,0x02,0x00,0x01,0x41,0x01,0xff]

v_max_num_f16_e64_dpp v5, v1, v2 row_shl:1
// GFX1170: v_max_num_f16_e64_dpp v5, v1, v2 row_shl:1 row_mask:0xf bank_mask:0xf ; encoding: [0x05,0x00,0x39,0xd5,0xfa,0x04,0x02,0x00,0x01,0x01,0x01,0xff]

v_max_num_f16_e64_dpp v5, v1, v2 row_shl:15
// GFX1170: v_max_num_f16_e64_dpp v5, v1, v2 row_shl:15 row_mask:0xf bank_mask:0xf ; encoding: [0x05,0x00,0x39,0xd5,0xfa,0x04,0x02,0x00,0x01,0x0f,0x01,0xff]
	;; [unrolled: 3-line block ×3, first 2 shown]

v_max_num_f16_e64_dpp v5, v1, 2.0 row_shl:15
// GFX1170: v_max_num_f16_e64_dpp v5, v1, 2.0 row_shl:15 row_mask:0xf bank_mask:0xf ; encoding: [0x05,0x00,0x39,0xd5,0xfa,0xe8,0x01,0x00,0x01,0x0f,0x01,0xff]

v_max_num_f16_e64_dpp v5, v1, v2 row_shr:1
// GFX1170: v_max_num_f16_e64_dpp v5, v1, v2 row_shr:1 row_mask:0xf bank_mask:0xf ; encoding: [0x05,0x00,0x39,0xd5,0xfa,0x04,0x02,0x00,0x01,0x11,0x01,0xff]

v_max_num_f16_e64_dpp v5, v1, v2 row_shr:15
// GFX1170: v_max_num_f16_e64_dpp v5, v1, v2 row_shr:15 row_mask:0xf bank_mask:0xf ; encoding: [0x05,0x00,0x39,0xd5,0xfa,0x04,0x02,0x00,0x01,0x1f,0x01,0xff]

v_max_num_f16_e64_dpp v5, v1, v2 row_ror:1
// GFX1170: v_max_num_f16_e64_dpp v5, v1, v2 row_ror:1 row_mask:0xf bank_mask:0xf ; encoding: [0x05,0x00,0x39,0xd5,0xfa,0x04,0x02,0x00,0x01,0x21,0x01,0xff]

v_max_num_f16_e64_dpp v5, v1, v2 row_ror:15
// GFX1170: v_max_num_f16_e64_dpp v5, v1, v2 row_ror:15 row_mask:0xf bank_mask:0xf ; encoding: [0x05,0x00,0x39,0xd5,0xfa,0x04,0x02,0x00,0x01,0x2f,0x01,0xff]

v_max_num_f16_e64_dpp v5, v1, v2 row_share:0 row_mask:0xf bank_mask:0xf
// GFX1170: v_max_num_f16_e64_dpp v5, v1, v2 row_share:0 row_mask:0xf bank_mask:0xf ; encoding: [0x05,0x00,0x39,0xd5,0xfa,0x04,0x02,0x00,0x01,0x50,0x01,0xff]

v_max_num_f16_e64_dpp v5, |v1|, -v2 mul:2 row_share:15 row_mask:0x0 bank_mask:0x1
// GFX1170: v_max_num_f16_e64_dpp v5, |v1|, -v2 mul:2 row_share:15 row_mask:0x0 bank_mask:0x1 ; encoding: [0x05,0x01,0x39,0xd5,0xfa,0x04,0x02,0x48,0x01,0x5f,0x01,0x01]

v_max_num_f16_e64_dpp v5, -v1, |v2| mul:4 row_xmask:0 row_mask:0x1 bank_mask:0x3 bound_ctrl:1 fi:0
// GFX1170: v_max_num_f16_e64_dpp v5, -v1, |v2| mul:4 row_xmask:0 row_mask:0x1 bank_mask:0x3 bound_ctrl:1 ; encoding: [0x05,0x02,0x39,0xd5,0xfa,0x04,0x02,0x30,0x01,0x60,0x09,0x13]

v_max_num_f16_e64_dpp v255, -|v255|, -|v255| clamp div:2 row_xmask:15 row_mask:0x3 bank_mask:0x0 bound_ctrl:0 fi:1
// GFX1170: v_max_num_f16_e64_dpp v255, -|v255|, -|v255| clamp div:2 row_xmask:15 row_mask:0x3 bank_mask:0x0 fi:1 ; encoding: [0xff,0x83,0x39,0xd5,0xfa,0xfe,0x03,0x78,0xff,0x6f,0x05,0x30]

v_max_num_f32_e64_dpp v5, v1, v2 quad_perm:[3,2,1,0]
// GFX1170: v_max_num_f32_e64_dpp v5, v1, v2 quad_perm:[3,2,1,0] row_mask:0xf bank_mask:0xf ; encoding: [0x05,0x00,0x10,0xd5,0xfa,0x04,0x02,0x00,0x01,0x1b,0x00,0xff]

v_max_num_f32_e64_dpp v5, v1, v2 quad_perm:[0,1,2,3]
// GFX1170: v_max_num_f32_e64_dpp v5, v1, v2 quad_perm:[0,1,2,3] row_mask:0xf bank_mask:0xf ; encoding: [0x05,0x00,0x10,0xd5,0xfa,0x04,0x02,0x00,0x01,0xe4,0x00,0xff]

v_max_num_f32_e64_dpp v5, v1, v2 row_mirror
// GFX1170: v_max_num_f32_e64_dpp v5, v1, v2 row_mirror row_mask:0xf bank_mask:0xf ; encoding: [0x05,0x00,0x10,0xd5,0xfa,0x04,0x02,0x00,0x01,0x40,0x01,0xff]

v_max_num_f32_e64_dpp v5, v1, v2 row_half_mirror
// GFX1170: v_max_num_f32_e64_dpp v5, v1, v2 row_half_mirror row_mask:0xf bank_mask:0xf ; encoding: [0x05,0x00,0x10,0xd5,0xfa,0x04,0x02,0x00,0x01,0x41,0x01,0xff]

v_max_num_f32_e64_dpp v5, v1, v2 row_shl:1
// GFX1170: v_max_num_f32_e64_dpp v5, v1, v2 row_shl:1 row_mask:0xf bank_mask:0xf ; encoding: [0x05,0x00,0x10,0xd5,0xfa,0x04,0x02,0x00,0x01,0x01,0x01,0xff]

v_max_num_f32_e64_dpp v5, v1, v2 row_shl:15
// GFX1170: v_max_num_f32_e64_dpp v5, v1, v2 row_shl:15 row_mask:0xf bank_mask:0xf ; encoding: [0x05,0x00,0x10,0xd5,0xfa,0x04,0x02,0x00,0x01,0x0f,0x01,0xff]
	;; [unrolled: 3-line block ×3, first 2 shown]

v_max_num_f32_e64_dpp v5, v1, 2.0 row_shl:15
// GFX1170: v_max_num_f32_e64_dpp v5, v1, 2.0 row_shl:15 row_mask:0xf bank_mask:0xf ; encoding: [0x05,0x00,0x10,0xd5,0xfa,0xe8,0x01,0x00,0x01,0x0f,0x01,0xff]

v_max_num_f32_e64_dpp v5, v1, v2 row_shr:1
// GFX1170: v_max_num_f32_e64_dpp v5, v1, v2 row_shr:1 row_mask:0xf bank_mask:0xf ; encoding: [0x05,0x00,0x10,0xd5,0xfa,0x04,0x02,0x00,0x01,0x11,0x01,0xff]

v_max_num_f32_e64_dpp v5, v1, v2 row_shr:15
// GFX1170: v_max_num_f32_e64_dpp v5, v1, v2 row_shr:15 row_mask:0xf bank_mask:0xf ; encoding: [0x05,0x00,0x10,0xd5,0xfa,0x04,0x02,0x00,0x01,0x1f,0x01,0xff]

v_max_num_f32_e64_dpp v5, v1, v2 row_ror:1
// GFX1170: v_max_num_f32_e64_dpp v5, v1, v2 row_ror:1 row_mask:0xf bank_mask:0xf ; encoding: [0x05,0x00,0x10,0xd5,0xfa,0x04,0x02,0x00,0x01,0x21,0x01,0xff]

v_max_num_f32_e64_dpp v5, v1, v2 row_ror:15
// GFX1170: v_max_num_f32_e64_dpp v5, v1, v2 row_ror:15 row_mask:0xf bank_mask:0xf ; encoding: [0x05,0x00,0x10,0xd5,0xfa,0x04,0x02,0x00,0x01,0x2f,0x01,0xff]

v_max_num_f32_e64_dpp v5, v1, v2 row_share:0 row_mask:0xf bank_mask:0xf
// GFX1170: v_max_num_f32_e64_dpp v5, v1, v2 row_share:0 row_mask:0xf bank_mask:0xf ; encoding: [0x05,0x00,0x10,0xd5,0xfa,0x04,0x02,0x00,0x01,0x50,0x01,0xff]

v_max_num_f32_e64_dpp v5, |v1|, -v2 mul:2 row_share:15 row_mask:0x0 bank_mask:0x1
// GFX1170: v_max_num_f32_e64_dpp v5, |v1|, -v2 mul:2 row_share:15 row_mask:0x0 bank_mask:0x1 ; encoding: [0x05,0x01,0x10,0xd5,0xfa,0x04,0x02,0x48,0x01,0x5f,0x01,0x01]

v_max_num_f32_e64_dpp v5, -v1, |v2| mul:4 row_xmask:0 row_mask:0x1 bank_mask:0x3 bound_ctrl:1 fi:0
// GFX1170: v_max_num_f32_e64_dpp v5, -v1, |v2| mul:4 row_xmask:0 row_mask:0x1 bank_mask:0x3 bound_ctrl:1 ; encoding: [0x05,0x02,0x10,0xd5,0xfa,0x04,0x02,0x30,0x01,0x60,0x09,0x13]

v_max_num_f32_e64_dpp v255, -|v255|, -|v255| clamp div:2 row_xmask:15 row_mask:0x3 bank_mask:0x0 bound_ctrl:0 fi:1
// GFX1170: v_max_num_f32_e64_dpp v255, -|v255|, -|v255| clamp div:2 row_xmask:15 row_mask:0x3 bank_mask:0x0 fi:1 ; encoding: [0xff,0x83,0x10,0xd5,0xfa,0xfe,0x03,0x78,0xff,0x6f,0x05,0x30]

v_min_num_f16_e64_dpp v5, v1, v2 quad_perm:[3,2,1,0]
// GFX1170: v_min_num_f16_e64_dpp v5, v1, v2 quad_perm:[3,2,1,0] row_mask:0xf bank_mask:0xf ; encoding: [0x05,0x00,0x3a,0xd5,0xfa,0x04,0x02,0x00,0x01,0x1b,0x00,0xff]

v_min_num_f16_e64_dpp v5, v1, v2 quad_perm:[0,1,2,3]
// GFX1170: v_min_num_f16_e64_dpp v5, v1, v2 quad_perm:[0,1,2,3] row_mask:0xf bank_mask:0xf ; encoding: [0x05,0x00,0x3a,0xd5,0xfa,0x04,0x02,0x00,0x01,0xe4,0x00,0xff]

v_min_num_f16_e64_dpp v5, v1, v2 row_mirror
// GFX1170: v_min_num_f16_e64_dpp v5, v1, v2 row_mirror row_mask:0xf bank_mask:0xf ; encoding: [0x05,0x00,0x3a,0xd5,0xfa,0x04,0x02,0x00,0x01,0x40,0x01,0xff]

v_min_num_f16_e64_dpp v5, v1, v2 row_half_mirror
// GFX1170: v_min_num_f16_e64_dpp v5, v1, v2 row_half_mirror row_mask:0xf bank_mask:0xf ; encoding: [0x05,0x00,0x3a,0xd5,0xfa,0x04,0x02,0x00,0x01,0x41,0x01,0xff]

v_min_num_f16_e64_dpp v5, v1, v2 row_shl:1
// GFX1170: v_min_num_f16_e64_dpp v5, v1, v2 row_shl:1 row_mask:0xf bank_mask:0xf ; encoding: [0x05,0x00,0x3a,0xd5,0xfa,0x04,0x02,0x00,0x01,0x01,0x01,0xff]

v_min_num_f16_e64_dpp v5, v1, v2 row_shl:15
// GFX1170: v_min_num_f16_e64_dpp v5, v1, v2 row_shl:15 row_mask:0xf bank_mask:0xf ; encoding: [0x05,0x00,0x3a,0xd5,0xfa,0x04,0x02,0x00,0x01,0x0f,0x01,0xff]
	;; [unrolled: 3-line block ×3, first 2 shown]

v_min_num_f16_e64_dpp v5, v1, 2.0 row_shl:15
// GFX1170: v_min_num_f16_e64_dpp v5, v1, 2.0 row_shl:15 row_mask:0xf bank_mask:0xf ; encoding: [0x05,0x00,0x3a,0xd5,0xfa,0xe8,0x01,0x00,0x01,0x0f,0x01,0xff]

v_min_num_f16_e64_dpp v5, v1, v2 row_shr:1
// GFX1170: v_min_num_f16_e64_dpp v5, v1, v2 row_shr:1 row_mask:0xf bank_mask:0xf ; encoding: [0x05,0x00,0x3a,0xd5,0xfa,0x04,0x02,0x00,0x01,0x11,0x01,0xff]

v_min_num_f16_e64_dpp v5, v1, v2 row_shr:15
// GFX1170: v_min_num_f16_e64_dpp v5, v1, v2 row_shr:15 row_mask:0xf bank_mask:0xf ; encoding: [0x05,0x00,0x3a,0xd5,0xfa,0x04,0x02,0x00,0x01,0x1f,0x01,0xff]

v_min_num_f16_e64_dpp v5, v1, v2 row_ror:1
// GFX1170: v_min_num_f16_e64_dpp v5, v1, v2 row_ror:1 row_mask:0xf bank_mask:0xf ; encoding: [0x05,0x00,0x3a,0xd5,0xfa,0x04,0x02,0x00,0x01,0x21,0x01,0xff]

v_min_num_f16_e64_dpp v5, v1, v2 row_ror:15
// GFX1170: v_min_num_f16_e64_dpp v5, v1, v2 row_ror:15 row_mask:0xf bank_mask:0xf ; encoding: [0x05,0x00,0x3a,0xd5,0xfa,0x04,0x02,0x00,0x01,0x2f,0x01,0xff]

v_min_num_f16_e64_dpp v5, v1, v2 row_share:0 row_mask:0xf bank_mask:0xf
// GFX1170: v_min_num_f16_e64_dpp v5, v1, v2 row_share:0 row_mask:0xf bank_mask:0xf ; encoding: [0x05,0x00,0x3a,0xd5,0xfa,0x04,0x02,0x00,0x01,0x50,0x01,0xff]

v_min_num_f16_e64_dpp v5, |v1|, -v2 mul:2 row_share:15 row_mask:0x0 bank_mask:0x1
// GFX1170: v_min_num_f16_e64_dpp v5, |v1|, -v2 mul:2 row_share:15 row_mask:0x0 bank_mask:0x1 ; encoding: [0x05,0x01,0x3a,0xd5,0xfa,0x04,0x02,0x48,0x01,0x5f,0x01,0x01]

v_min_num_f16_e64_dpp v5, -v1, |v2| mul:4 row_xmask:0 row_mask:0x1 bank_mask:0x3 bound_ctrl:1 fi:0
// GFX1170: v_min_num_f16_e64_dpp v5, -v1, |v2| mul:4 row_xmask:0 row_mask:0x1 bank_mask:0x3 bound_ctrl:1 ; encoding: [0x05,0x02,0x3a,0xd5,0xfa,0x04,0x02,0x30,0x01,0x60,0x09,0x13]

v_min_num_f16_e64_dpp v255, -|v255|, -|v255| clamp div:2 row_xmask:15 row_mask:0x3 bank_mask:0x0 bound_ctrl:0 fi:1
// GFX1170: v_min_num_f16_e64_dpp v255, -|v255|, -|v255| clamp div:2 row_xmask:15 row_mask:0x3 bank_mask:0x0 fi:1 ; encoding: [0xff,0x83,0x3a,0xd5,0xfa,0xfe,0x03,0x78,0xff,0x6f,0x05,0x30]

v_min_num_f32_e64_dpp v5, v1, v2 quad_perm:[3,2,1,0]
// GFX1170: v_min_num_f32_e64_dpp v5, v1, v2 quad_perm:[3,2,1,0] row_mask:0xf bank_mask:0xf ; encoding: [0x05,0x00,0x0f,0xd5,0xfa,0x04,0x02,0x00,0x01,0x1b,0x00,0xff]

v_min_num_f32_e64_dpp v5, v1, v2 quad_perm:[0,1,2,3]
// GFX1170: v_min_num_f32_e64_dpp v5, v1, v2 quad_perm:[0,1,2,3] row_mask:0xf bank_mask:0xf ; encoding: [0x05,0x00,0x0f,0xd5,0xfa,0x04,0x02,0x00,0x01,0xe4,0x00,0xff]

v_min_num_f32_e64_dpp v5, v1, v2 row_mirror
// GFX1170: v_min_num_f32_e64_dpp v5, v1, v2 row_mirror row_mask:0xf bank_mask:0xf ; encoding: [0x05,0x00,0x0f,0xd5,0xfa,0x04,0x02,0x00,0x01,0x40,0x01,0xff]

v_min_num_f32_e64_dpp v5, v1, v2 row_half_mirror
// GFX1170: v_min_num_f32_e64_dpp v5, v1, v2 row_half_mirror row_mask:0xf bank_mask:0xf ; encoding: [0x05,0x00,0x0f,0xd5,0xfa,0x04,0x02,0x00,0x01,0x41,0x01,0xff]

v_min_num_f32_e64_dpp v5, v1, v2 row_shl:1
// GFX1170: v_min_num_f32_e64_dpp v5, v1, v2 row_shl:1 row_mask:0xf bank_mask:0xf ; encoding: [0x05,0x00,0x0f,0xd5,0xfa,0x04,0x02,0x00,0x01,0x01,0x01,0xff]

v_min_num_f32_e64_dpp v5, v1, v2 row_shl:15
// GFX1170: v_min_num_f32_e64_dpp v5, v1, v2 row_shl:15 row_mask:0xf bank_mask:0xf ; encoding: [0x05,0x00,0x0f,0xd5,0xfa,0x04,0x02,0x00,0x01,0x0f,0x01,0xff]
	;; [unrolled: 3-line block ×3, first 2 shown]

v_min_num_f32_e64_dpp v5, v1, 2.0 row_shl:15
// GFX1170: v_min_num_f32_e64_dpp v5, v1, 2.0 row_shl:15 row_mask:0xf bank_mask:0xf ; encoding: [0x05,0x00,0x0f,0xd5,0xfa,0xe8,0x01,0x00,0x01,0x0f,0x01,0xff]

v_min_num_f32_e64_dpp v5, v1, v2 row_shr:1
// GFX1170: v_min_num_f32_e64_dpp v5, v1, v2 row_shr:1 row_mask:0xf bank_mask:0xf ; encoding: [0x05,0x00,0x0f,0xd5,0xfa,0x04,0x02,0x00,0x01,0x11,0x01,0xff]

v_min_num_f32_e64_dpp v5, v1, v2 row_shr:15
// GFX1170: v_min_num_f32_e64_dpp v5, v1, v2 row_shr:15 row_mask:0xf bank_mask:0xf ; encoding: [0x05,0x00,0x0f,0xd5,0xfa,0x04,0x02,0x00,0x01,0x1f,0x01,0xff]

v_min_num_f32_e64_dpp v5, v1, v2 row_ror:1
// GFX1170: v_min_num_f32_e64_dpp v5, v1, v2 row_ror:1 row_mask:0xf bank_mask:0xf ; encoding: [0x05,0x00,0x0f,0xd5,0xfa,0x04,0x02,0x00,0x01,0x21,0x01,0xff]

v_min_num_f32_e64_dpp v5, v1, v2 row_ror:15
// GFX1170: v_min_num_f32_e64_dpp v5, v1, v2 row_ror:15 row_mask:0xf bank_mask:0xf ; encoding: [0x05,0x00,0x0f,0xd5,0xfa,0x04,0x02,0x00,0x01,0x2f,0x01,0xff]

v_min_num_f32_e64_dpp v5, v1, v2 row_share:0 row_mask:0xf bank_mask:0xf
// GFX1170: v_min_num_f32_e64_dpp v5, v1, v2 row_share:0 row_mask:0xf bank_mask:0xf ; encoding: [0x05,0x00,0x0f,0xd5,0xfa,0x04,0x02,0x00,0x01,0x50,0x01,0xff]

v_min_num_f32_e64_dpp v5, |v1|, -v2 mul:2 row_share:15 row_mask:0x0 bank_mask:0x1
// GFX1170: v_min_num_f32_e64_dpp v5, |v1|, -v2 mul:2 row_share:15 row_mask:0x0 bank_mask:0x1 ; encoding: [0x05,0x01,0x0f,0xd5,0xfa,0x04,0x02,0x48,0x01,0x5f,0x01,0x01]

v_min_num_f32_e64_dpp v5, -v1, |v2| mul:4 row_xmask:0 row_mask:0x1 bank_mask:0x3 bound_ctrl:1 fi:0
// GFX1170: v_min_num_f32_e64_dpp v5, -v1, |v2| mul:4 row_xmask:0 row_mask:0x1 bank_mask:0x3 bound_ctrl:1 ; encoding: [0x05,0x02,0x0f,0xd5,0xfa,0x04,0x02,0x30,0x01,0x60,0x09,0x13]

v_min_num_f32_e64_dpp v255, -|v255|, -|v255| clamp div:2 row_xmask:15 row_mask:0x3 bank_mask:0x0 bound_ctrl:0 fi:1
// GFX1170: v_min_num_f32_e64_dpp v255, -|v255|, -|v255| clamp div:2 row_xmask:15 row_mask:0x3 bank_mask:0x0 fi:1 ; encoding: [0xff,0x83,0x0f,0xd5,0xfa,0xfe,0x03,0x78,0xff,0x6f,0x05,0x30]
